;; amdgpu-corpus repo=ROCm/rocFFT kind=compiled arch=gfx950 opt=O3
	.text
	.amdgcn_target "amdgcn-amd-amdhsa--gfx950"
	.amdhsa_code_object_version 6
	.protected	fft_rtc_fwd_len3072_factors_6_4_4_4_4_2_wgs_256_tpt_256_halfLds_dp_op_CI_CI_unitstride_sbrr_C2R_dirReg ; -- Begin function fft_rtc_fwd_len3072_factors_6_4_4_4_4_2_wgs_256_tpt_256_halfLds_dp_op_CI_CI_unitstride_sbrr_C2R_dirReg
	.globl	fft_rtc_fwd_len3072_factors_6_4_4_4_4_2_wgs_256_tpt_256_halfLds_dp_op_CI_CI_unitstride_sbrr_C2R_dirReg
	.p2align	8
	.type	fft_rtc_fwd_len3072_factors_6_4_4_4_4_2_wgs_256_tpt_256_halfLds_dp_op_CI_CI_unitstride_sbrr_C2R_dirReg,@function
fft_rtc_fwd_len3072_factors_6_4_4_4_4_2_wgs_256_tpt_256_halfLds_dp_op_CI_CI_unitstride_sbrr_C2R_dirReg: ; @fft_rtc_fwd_len3072_factors_6_4_4_4_4_2_wgs_256_tpt_256_halfLds_dp_op_CI_CI_unitstride_sbrr_C2R_dirReg
; %bb.0:
	s_load_dwordx4 s[4:7], s[0:1], 0x58
	s_load_dwordx4 s[8:11], s[0:1], 0x0
	;; [unrolled: 1-line block ×3, first 2 shown]
	v_mov_b32_e32 v6, s2
	v_mov_b32_e32 v4, 0
	v_mov_b32_e32 v7, v4
	s_waitcnt lgkmcnt(0)
	v_cmp_lt_u64_e64 s[2:3], s[10:11], 2
	s_and_b64 vcc, exec, s[2:3]
	v_mov_b64_e32 v[2:3], 0
	s_cbranch_vccnz .LBB0_8
; %bb.1:
	s_load_dwordx2 s[2:3], s[0:1], 0x10
	s_add_u32 s16, s14, 8
	s_addc_u32 s17, s15, 0
	s_add_u32 s18, s12, 8
	s_addc_u32 s19, s13, 0
	s_waitcnt lgkmcnt(0)
	s_add_u32 s20, s2, 8
	v_mov_b64_e32 v[2:3], 0
	s_addc_u32 s21, s3, 0
	s_mov_b64 s[22:23], 1
	v_mov_b64_e32 v[10:11], v[2:3]
.LBB0_2:                                ; =>This Inner Loop Header: Depth=1
	s_load_dwordx2 s[24:25], s[20:21], 0x0
                                        ; implicit-def: $vgpr12_vgpr13
	s_waitcnt lgkmcnt(0)
	v_or_b32_e32 v5, s25, v7
	v_cmp_ne_u64_e32 vcc, 0, v[4:5]
	s_and_saveexec_b64 s[2:3], vcc
	s_xor_b64 s[26:27], exec, s[2:3]
	s_cbranch_execz .LBB0_4
; %bb.3:                                ;   in Loop: Header=BB0_2 Depth=1
	v_cvt_f32_u32_e32 v1, s24
	v_cvt_f32_u32_e32 v5, s25
	s_sub_u32 s2, 0, s24
	s_subb_u32 s3, 0, s25
	v_fmac_f32_e32 v1, 0x4f800000, v5
	v_rcp_f32_e32 v1, v1
	s_nop 0
	v_mul_f32_e32 v1, 0x5f7ffffc, v1
	v_mul_f32_e32 v5, 0x2f800000, v1
	v_trunc_f32_e32 v5, v5
	v_fmac_f32_e32 v1, 0xcf800000, v5
	v_cvt_u32_f32_e32 v5, v5
	v_cvt_u32_f32_e32 v1, v1
	v_mul_lo_u32 v8, s2, v5
	v_mul_hi_u32 v12, s2, v1
	v_mul_lo_u32 v9, s3, v1
	v_add_u32_e32 v12, v12, v8
	v_mul_lo_u32 v14, s2, v1
	v_add_u32_e32 v15, v12, v9
	v_mul_hi_u32 v8, v1, v14
	v_mul_hi_u32 v13, v1, v15
	v_mul_lo_u32 v12, v1, v15
	v_mov_b32_e32 v9, v4
	v_lshl_add_u64 v[8:9], v[8:9], 0, v[12:13]
	v_mul_hi_u32 v13, v5, v14
	v_mul_lo_u32 v14, v5, v14
	v_add_co_u32_e32 v8, vcc, v8, v14
	v_mul_hi_u32 v12, v5, v15
	s_nop 0
	v_addc_co_u32_e32 v8, vcc, v9, v13, vcc
	v_mov_b32_e32 v9, v4
	s_nop 0
	v_addc_co_u32_e32 v13, vcc, 0, v12, vcc
	v_mul_lo_u32 v12, v5, v15
	v_lshl_add_u64 v[8:9], v[8:9], 0, v[12:13]
	v_add_co_u32_e32 v1, vcc, v1, v8
	v_mul_lo_u32 v12, s2, v1
	s_nop 0
	v_addc_co_u32_e32 v5, vcc, v5, v9, vcc
	v_mul_lo_u32 v8, s2, v5
	v_mul_hi_u32 v9, s2, v1
	v_add_u32_e32 v8, v9, v8
	v_mul_lo_u32 v9, s3, v1
	v_add_u32_e32 v14, v8, v9
	v_mul_hi_u32 v16, v5, v12
	v_mul_lo_u32 v17, v5, v12
	v_mul_hi_u32 v9, v1, v14
	v_mul_lo_u32 v8, v1, v14
	v_mul_hi_u32 v12, v1, v12
	v_mov_b32_e32 v13, v4
	v_lshl_add_u64 v[8:9], v[12:13], 0, v[8:9]
	v_add_co_u32_e32 v8, vcc, v8, v17
	v_mul_hi_u32 v15, v5, v14
	s_nop 0
	v_addc_co_u32_e32 v8, vcc, v9, v16, vcc
	v_mul_lo_u32 v12, v5, v14
	s_nop 0
	v_addc_co_u32_e32 v13, vcc, 0, v15, vcc
	v_mov_b32_e32 v9, v4
	v_lshl_add_u64 v[8:9], v[8:9], 0, v[12:13]
	v_add_co_u32_e32 v1, vcc, v1, v8
	v_mul_hi_u32 v12, v6, v1
	s_nop 0
	v_addc_co_u32_e32 v5, vcc, v5, v9, vcc
	v_mad_u64_u32 v[8:9], s[2:3], v6, v5, 0
	v_mov_b32_e32 v13, v4
	v_lshl_add_u64 v[8:9], v[12:13], 0, v[8:9]
	v_mad_u64_u32 v[14:15], s[2:3], v7, v1, 0
	v_add_co_u32_e32 v1, vcc, v8, v14
	v_mad_u64_u32 v[12:13], s[2:3], v7, v5, 0
	s_nop 0
	v_addc_co_u32_e32 v8, vcc, v9, v15, vcc
	v_mov_b32_e32 v9, v4
	s_nop 0
	v_addc_co_u32_e32 v13, vcc, 0, v13, vcc
	v_lshl_add_u64 v[8:9], v[8:9], 0, v[12:13]
	v_mul_lo_u32 v1, s25, v8
	v_mul_lo_u32 v5, s24, v9
	v_mad_u64_u32 v[12:13], s[2:3], s24, v8, 0
	v_add3_u32 v1, v13, v5, v1
	v_sub_u32_e32 v5, v7, v1
	v_mov_b32_e32 v13, s25
	v_sub_co_u32_e32 v16, vcc, v6, v12
	v_lshl_add_u64 v[14:15], v[8:9], 0, 1
	s_nop 0
	v_subb_co_u32_e64 v5, s[2:3], v5, v13, vcc
	v_subrev_co_u32_e64 v12, s[2:3], s24, v16
	v_subb_co_u32_e32 v1, vcc, v7, v1, vcc
	s_nop 0
	v_subbrev_co_u32_e64 v5, s[2:3], 0, v5, s[2:3]
	v_cmp_le_u32_e64 s[2:3], s25, v5
	v_cmp_le_u32_e32 vcc, s25, v1
	s_nop 0
	v_cndmask_b32_e64 v13, 0, -1, s[2:3]
	v_cmp_le_u32_e64 s[2:3], s24, v12
	s_nop 1
	v_cndmask_b32_e64 v12, 0, -1, s[2:3]
	v_cmp_eq_u32_e64 s[2:3], s25, v5
	s_nop 1
	v_cndmask_b32_e64 v5, v13, v12, s[2:3]
	v_lshl_add_u64 v[12:13], v[8:9], 0, 2
	v_cmp_ne_u32_e64 s[2:3], 0, v5
	s_nop 1
	v_cndmask_b32_e64 v5, v15, v13, s[2:3]
	v_cndmask_b32_e64 v13, 0, -1, vcc
	v_cmp_le_u32_e32 vcc, s24, v16
	s_nop 1
	v_cndmask_b32_e64 v15, 0, -1, vcc
	v_cmp_eq_u32_e32 vcc, s25, v1
	s_nop 1
	v_cndmask_b32_e32 v1, v13, v15, vcc
	v_cmp_ne_u32_e32 vcc, 0, v1
	v_cndmask_b32_e64 v1, v14, v12, s[2:3]
	s_nop 0
	v_cndmask_b32_e32 v13, v9, v5, vcc
	v_cndmask_b32_e32 v12, v8, v1, vcc
.LBB0_4:                                ;   in Loop: Header=BB0_2 Depth=1
	s_andn2_saveexec_b64 s[2:3], s[26:27]
	s_cbranch_execz .LBB0_6
; %bb.5:                                ;   in Loop: Header=BB0_2 Depth=1
	v_cvt_f32_u32_e32 v1, s24
	s_sub_i32 s26, 0, s24
	v_mov_b32_e32 v13, v4
	v_rcp_iflag_f32_e32 v1, v1
	s_nop 0
	v_mul_f32_e32 v1, 0x4f7ffffe, v1
	v_cvt_u32_f32_e32 v1, v1
	v_mul_lo_u32 v5, s26, v1
	v_mul_hi_u32 v5, v1, v5
	v_add_u32_e32 v1, v1, v5
	v_mul_hi_u32 v1, v6, v1
	v_mul_lo_u32 v5, v1, s24
	v_sub_u32_e32 v5, v6, v5
	v_add_u32_e32 v8, 1, v1
	v_subrev_u32_e32 v9, s24, v5
	v_cmp_le_u32_e32 vcc, s24, v5
	s_nop 1
	v_cndmask_b32_e32 v5, v5, v9, vcc
	v_cndmask_b32_e32 v1, v1, v8, vcc
	v_add_u32_e32 v8, 1, v1
	v_cmp_le_u32_e32 vcc, s24, v5
	s_nop 1
	v_cndmask_b32_e32 v12, v1, v8, vcc
.LBB0_6:                                ;   in Loop: Header=BB0_2 Depth=1
	s_or_b64 exec, exec, s[2:3]
	v_mad_u64_u32 v[8:9], s[2:3], v12, s24, 0
	s_load_dwordx2 s[2:3], s[18:19], 0x0
	v_mul_lo_u32 v1, v13, s24
	v_mul_lo_u32 v5, v12, s25
	s_load_dwordx2 s[24:25], s[16:17], 0x0
	s_add_u32 s22, s22, 1
	v_add3_u32 v1, v9, v5, v1
	v_sub_co_u32_e32 v5, vcc, v6, v8
	s_addc_u32 s23, s23, 0
	s_nop 0
	v_subb_co_u32_e32 v1, vcc, v7, v1, vcc
	s_add_u32 s16, s16, 8
	s_waitcnt lgkmcnt(0)
	v_mul_lo_u32 v6, s2, v1
	v_mul_lo_u32 v7, s3, v5
	v_mad_u64_u32 v[2:3], s[2:3], s2, v5, v[2:3]
	s_addc_u32 s17, s17, 0
	v_add3_u32 v3, v7, v3, v6
	v_mul_lo_u32 v1, s24, v1
	v_mul_lo_u32 v6, s25, v5
	v_mad_u64_u32 v[10:11], s[2:3], s24, v5, v[10:11]
	s_add_u32 s18, s18, 8
	v_add3_u32 v11, v6, v11, v1
	s_addc_u32 s19, s19, 0
	v_mov_b64_e32 v[6:7], s[10:11]
	s_add_u32 s20, s20, 8
	v_cmp_ge_u64_e32 vcc, s[22:23], v[6:7]
	s_addc_u32 s21, s21, 0
	s_cbranch_vccnz .LBB0_9
; %bb.7:                                ;   in Loop: Header=BB0_2 Depth=1
	v_mov_b64_e32 v[6:7], v[12:13]
	s_branch .LBB0_2
.LBB0_8:
	v_mov_b64_e32 v[10:11], v[2:3]
	v_mov_b64_e32 v[12:13], v[6:7]
.LBB0_9:
	s_load_dwordx2 s[0:1], s[0:1], 0x28
	s_lshl_b64 s[16:17], s[10:11], 3
	s_add_u32 s2, s14, s16
	s_addc_u32 s3, s15, s17
                                        ; implicit-def: $vgpr14
                                        ; implicit-def: $vgpr18_vgpr19
	s_waitcnt lgkmcnt(0)
	v_cmp_gt_u64_e32 vcc, s[0:1], v[12:13]
	v_cmp_le_u64_e64 s[0:1], s[0:1], v[12:13]
	s_and_saveexec_b64 s[10:11], s[0:1]
	s_xor_b64 s[0:1], exec, s[10:11]
; %bb.10:
	v_mov_b32_e32 v1, 0
	v_mov_b32_e32 v14, v0
	v_mov_b64_e32 v[18:19], v[0:1]
                                        ; implicit-def: $vgpr2_vgpr3
; %bb.11:
	s_or_saveexec_b64 s[10:11], s[0:1]
	s_load_dwordx2 s[2:3], s[2:3], 0x0
	s_xor_b64 exec, exec, s[10:11]
	s_cbranch_execz .LBB0_15
; %bb.12:
	s_add_u32 s0, s12, s16
	s_addc_u32 s1, s13, s17
	s_load_dwordx2 s[0:1], s[0:1], 0x0
	v_mov_b32_e32 v1, 0
	v_mov_b32_e32 v15, v1
	;; [unrolled: 1-line block ×4, first 2 shown]
	s_waitcnt lgkmcnt(0)
	v_mul_lo_u32 v6, s1, v12
	v_mul_lo_u32 v7, s0, v13
	v_mad_u64_u32 v[4:5], s[0:1], s0, v12, 0
	v_add3_u32 v5, v5, v7, v6
	v_lshl_add_u64 v[4:5], v[4:5], 4, s[4:5]
	v_lshl_add_u64 v[2:3], v[2:3], 4, v[4:5]
	v_lshlrev_b32_e32 v4, 4, v0
	v_mov_b32_e32 v5, v1
	v_or_b32_e32 v14, 0x1000, v4
	v_or_b32_e32 v16, 0x2000, v4
	v_lshl_add_u64 v[6:7], v[2:3], 0, v[4:5]
	v_lshl_add_u64 v[14:15], v[2:3], 0, v[14:15]
	;; [unrolled: 1-line block ×3, first 2 shown]
	global_load_dwordx4 v[6:9], v[6:7], off
	s_nop 0
	global_load_dwordx4 v[16:19], v[14:15], off
	global_load_dwordx4 v[20:23], v[24:25], off
	v_or_b32_e32 v60, 0x3000, v4
	v_or_b32_e32 v24, 0x4000, v4
	v_mov_b32_e32 v25, v1
	v_lshl_add_u64 v[14:15], v[2:3], 0, v[60:61]
	v_lshl_add_u64 v[32:33], v[2:3], 0, v[24:25]
	global_load_dwordx4 v[24:27], v[14:15], off
	global_load_dwordx4 v[28:31], v[32:33], off
	v_or_b32_e32 v14, 0x5000, v4
	v_mov_b32_e32 v15, v1
	v_or_b32_e32 v32, 0x6000, v4
	v_mov_b32_e32 v33, v1
	v_lshl_add_u64 v[14:15], v[2:3], 0, v[14:15]
	v_lshl_add_u64 v[40:41], v[2:3], 0, v[32:33]
	v_or_b32_e32 v62, 0x7000, v4
	v_mov_b32_e32 v63, v1
	global_load_dwordx4 v[32:35], v[14:15], off
	global_load_dwordx4 v[36:39], v[40:41], off
	v_lshl_add_u64 v[14:15], v[2:3], 0, v[62:63]
	v_or_b32_e32 v40, 0x8000, v4
	v_mov_b32_e32 v41, v1
	v_lshl_add_u64 v[48:49], v[2:3], 0, v[40:41]
	global_load_dwordx4 v[40:43], v[14:15], off
	global_load_dwordx4 v[44:47], v[48:49], off
	v_or_b32_e32 v14, 0x9000, v4
	v_mov_b32_e32 v15, v1
	v_lshl_add_u64 v[14:15], v[2:3], 0, v[14:15]
	v_or_b32_e32 v48, 0xa000, v4
	v_mov_b32_e32 v49, v1
	v_lshl_add_u64 v[56:57], v[2:3], 0, v[48:49]
	global_load_dwordx4 v[48:51], v[14:15], off
	global_load_dwordx4 v[52:55], v[56:57], off
	v_or_b32_e32 v64, 0xb000, v4
	v_mov_b32_e32 v65, v1
	v_lshl_add_u64 v[2:3], v[2:3], 0, v[64:65]
	global_load_dwordx4 v[56:59], v[2:3], off
	s_movk_i32 s0, 0xff
	v_add_u32_e32 v5, 0, v4
	v_mov_b32_e32 v14, v0
	v_cmp_eq_u32_e64 s[0:1], s0, v0
	v_add_u32_e32 v15, 0, v60
	v_add_u32_e32 v60, 0, v62
	;; [unrolled: 1-line block ×3, first 2 shown]
	s_waitcnt vmcnt(11)
	ds_write_b128 v5, v[6:9]
	s_waitcnt vmcnt(10)
	ds_write_b128 v5, v[16:19] offset:4096
	s_waitcnt vmcnt(9)
	ds_write_b128 v5, v[20:23] offset:8192
	s_waitcnt vmcnt(8)
	ds_write_b128 v15, v[24:27]
	s_waitcnt vmcnt(7)
	ds_write_b128 v5, v[28:31] offset:16384
	s_waitcnt vmcnt(6)
	ds_write_b128 v5, v[32:35] offset:20480
	;; [unrolled: 2-line block ×3, first 2 shown]
	s_waitcnt vmcnt(4)
	ds_write_b128 v60, v[40:43]
	s_waitcnt vmcnt(3)
	ds_write_b128 v5, v[44:47] offset:32768
	s_waitcnt vmcnt(2)
	ds_write_b128 v5, v[48:51] offset:36864
	s_waitcnt vmcnt(1)
	ds_write_b128 v5, v[52:55] offset:40960
	s_waitcnt vmcnt(0)
	ds_write_b128 v4, v[56:59]
	v_mov_b64_e32 v[18:19], v[0:1]
	s_and_saveexec_b64 s[4:5], s[0:1]
	s_cbranch_execz .LBB0_14
; %bb.13:
	global_load_dwordx4 v[6:9], v[2:3], off offset:16
	v_mov_b32_e32 v14, 0xff
	v_mov_b64_e32 v[18:19], 0xff
	s_waitcnt vmcnt(0)
	ds_write_b128 v4, v[6:9] offset:16
.LBB0_14:
	s_or_b64 exec, exec, s[4:5]
.LBB0_15:
	s_or_b64 exec, exec, s[10:11]
	v_lshlrev_b32_e32 v2, 4, v14
	v_add_u32_e32 v1, 0, v2
	s_waitcnt lgkmcnt(0)
	s_barrier
	v_sub_u32_e32 v15, 0, v2
	ds_read_b64 v[6:7], v1
	ds_read_b64 v[8:9], v15 offset:49152
	s_add_u32 s4, s8, 0xbfa0
	s_addc_u32 s5, s9, 0
	v_cmp_ne_u32_e64 s[0:1], 0, v14
	s_waitcnt lgkmcnt(0)
	v_add_f64 v[2:3], v[6:7], v[8:9]
	v_add_f64 v[4:5], v[6:7], -v[8:9]
	s_and_saveexec_b64 s[10:11], s[0:1]
	s_xor_b64 s[0:1], exec, s[10:11]
	s_cbranch_execz .LBB0_17
; %bb.16:
	v_lshl_add_u64 v[2:3], v[18:19], 4, s[4:5]
	global_load_dwordx4 v[20:23], v[2:3], off
	ds_read_b64 v[2:3], v15 offset:49160
	ds_read_b64 v[4:5], v1 offset:8
	v_add_f64 v[16:17], v[6:7], v[8:9]
	v_add_f64 v[24:25], v[6:7], -v[8:9]
	s_waitcnt lgkmcnt(0)
	v_add_f64 v[26:27], v[2:3], v[4:5]
	v_add_f64 v[2:3], v[4:5], -v[2:3]
	s_waitcnt vmcnt(0)
	v_fma_f64 v[6:7], -v[24:25], v[22:23], v[16:17]
	v_fma_f64 v[8:9], v[26:27], v[22:23], -v[2:3]
	v_fma_f64 v[28:29], v[24:25], v[22:23], v[16:17]
	v_fma_f64 v[4:5], v[26:27], v[22:23], v[2:3]
	v_fmac_f64_e32 v[6:7], v[26:27], v[20:21]
	v_fmac_f64_e32 v[8:9], v[24:25], v[20:21]
	v_fma_f64 v[2:3], -v[26:27], v[20:21], v[28:29]
	v_fmac_f64_e32 v[4:5], v[24:25], v[20:21]
	ds_write_b128 v15, v[6:9] offset:49152
.LBB0_17:
	s_andn2_saveexec_b64 s[0:1], s[0:1]
	s_cbranch_execz .LBB0_19
; %bb.18:
	v_mov_b32_e32 v16, 0
	ds_read_b128 v[6:9], v16 offset:24576
	s_waitcnt lgkmcnt(0)
	v_add_f64 v[6:7], v[6:7], v[6:7]
	v_mul_f64 v[8:9], v[8:9], -2.0
	ds_write_b128 v16, v[6:9] offset:24576
.LBB0_19:
	s_or_b64 exec, exec, s[0:1]
	v_or_b32_e32 v16, 0x100, v14
	v_mov_b32_e32 v17, 0
	v_lshlrev_b64 v[20:21], 4, v[16:17]
	v_lshl_add_u64 v[6:7], s[4:5], 0, v[20:21]
	global_load_dwordx4 v[6:9], v[6:7], off
	v_or_b32_e32 v30, 0x200, v14
	v_mov_b32_e32 v31, v17
	v_lshlrev_b64 v[22:23], 4, v[30:31]
	v_lshl_add_u64 v[24:25], s[4:5], 0, v[22:23]
	global_load_dwordx4 v[32:35], v[24:25], off
	;; [unrolled: 5-line block ×3, first 2 shown]
	v_mov_b32_e32 v24, 0x3000
	v_lshl_or_b32 v24, v0, 4, v24
	global_load_dwordx4 v[36:39], v24, s[4:5]
	v_or_b32_e32 v28, 0x500, v14
	v_mov_b32_e32 v29, v17
	v_lshlrev_b64 v[28:29], 4, v[28:29]
	ds_write_b128 v1, v[2:5]
	v_lshl_add_u64 v[48:49], s[4:5], 0, v[28:29]
	ds_read_b128 v[2:5], v1 offset:4096
	ds_read_b128 v[44:47], v15 offset:45056
	global_load_dwordx4 v[48:51], v[48:49], off
	s_mov_b32 s0, 0xe8584caa
	s_mov_b32 s1, 0x3febb67a
	;; [unrolled: 1-line block ×3, first 2 shown]
	s_waitcnt lgkmcnt(0)
	v_add_f64 v[52:53], v[2:3], v[44:45]
	v_add_f64 v[54:55], v[46:47], v[4:5]
	v_add_f64 v[56:57], v[2:3], -v[44:45]
	v_add_f64 v[2:3], v[4:5], -v[46:47]
	s_mov_b32 s4, s0
	s_movk_i32 s10, 0x1000
	s_waitcnt vmcnt(4)
	v_fma_f64 v[58:59], v[56:57], v[8:9], v[52:53]
	v_fma_f64 v[4:5], v[54:55], v[8:9], v[2:3]
	v_fma_f64 v[44:45], -v[56:57], v[8:9], v[52:53]
	v_fma_f64 v[46:47], v[54:55], v[8:9], -v[2:3]
	v_fma_f64 v[2:3], -v[54:55], v[6:7], v[58:59]
	v_fmac_f64_e32 v[4:5], v[56:57], v[6:7]
	v_fmac_f64_e32 v[44:45], v[54:55], v[6:7]
	;; [unrolled: 1-line block ×3, first 2 shown]
	ds_write_b128 v1, v[2:5] offset:4096
	ds_write_b128 v15, v[44:47] offset:45056
	ds_read_b128 v[2:5], v1 offset:8192
	ds_read_b128 v[44:47], v15 offset:40960
	v_add_u32_e32 v6, 0, v24
	s_waitcnt lgkmcnt(0)
	v_add_f64 v[8:9], v[2:3], v[44:45]
	v_add_f64 v[52:53], v[46:47], v[4:5]
	v_add_f64 v[54:55], v[2:3], -v[44:45]
	v_add_f64 v[2:3], v[4:5], -v[46:47]
	s_waitcnt vmcnt(3)
	v_fma_f64 v[56:57], v[54:55], v[34:35], v[8:9]
	v_fma_f64 v[4:5], v[52:53], v[34:35], v[2:3]
	v_fma_f64 v[44:45], -v[54:55], v[34:35], v[8:9]
	v_fma_f64 v[46:47], v[52:53], v[34:35], -v[2:3]
	v_fma_f64 v[2:3], -v[52:53], v[32:33], v[56:57]
	v_fmac_f64_e32 v[4:5], v[54:55], v[32:33]
	v_fmac_f64_e32 v[44:45], v[52:53], v[32:33]
	v_fmac_f64_e32 v[46:47], v[54:55], v[32:33]
	ds_write_b128 v1, v[2:5] offset:8192
	ds_write_b128 v15, v[44:47] offset:40960
	ds_read_b128 v[2:5], v6
	ds_read_b128 v[32:35], v15 offset:36864
	s_waitcnt lgkmcnt(0)
	v_add_f64 v[8:9], v[2:3], v[32:33]
	v_add_f64 v[44:45], v[34:35], v[4:5]
	v_add_f64 v[46:47], v[2:3], -v[32:33]
	v_add_f64 v[2:3], v[4:5], -v[34:35]
	s_waitcnt vmcnt(1)
	v_fma_f64 v[52:53], v[46:47], v[38:39], v[8:9]
	v_fma_f64 v[4:5], v[44:45], v[38:39], v[2:3]
	v_fma_f64 v[32:33], -v[46:47], v[38:39], v[8:9]
	v_fma_f64 v[34:35], v[44:45], v[38:39], -v[2:3]
	v_fma_f64 v[2:3], -v[44:45], v[36:37], v[52:53]
	v_fmac_f64_e32 v[4:5], v[46:47], v[36:37]
	v_fmac_f64_e32 v[32:33], v[44:45], v[36:37]
	;; [unrolled: 1-line block ×3, first 2 shown]
	ds_write_b128 v6, v[2:5]
	ds_write_b128 v15, v[32:35] offset:36864
	ds_read_b128 v[2:5], v1 offset:16384
	ds_read_b128 v[32:35], v15 offset:32768
	s_waitcnt lgkmcnt(0)
	v_add_f64 v[8:9], v[2:3], v[32:33]
	v_add_f64 v[36:37], v[34:35], v[4:5]
	v_add_f64 v[38:39], v[2:3], -v[32:33]
	v_add_f64 v[2:3], v[4:5], -v[34:35]
	v_fma_f64 v[44:45], v[38:39], v[42:43], v[8:9]
	v_fma_f64 v[4:5], v[36:37], v[42:43], v[2:3]
	v_fma_f64 v[32:33], -v[38:39], v[42:43], v[8:9]
	v_fma_f64 v[34:35], v[36:37], v[42:43], -v[2:3]
	v_fma_f64 v[2:3], -v[36:37], v[40:41], v[44:45]
	v_fmac_f64_e32 v[4:5], v[38:39], v[40:41]
	v_fmac_f64_e32 v[32:33], v[36:37], v[40:41]
	;; [unrolled: 1-line block ×3, first 2 shown]
	ds_write_b128 v1, v[2:5] offset:16384
	ds_write_b128 v15, v[32:35] offset:32768
	ds_read_b128 v[2:5], v1 offset:20480
	ds_read_b128 v[32:35], v15 offset:28672
	s_waitcnt lgkmcnt(0)
	v_add_f64 v[8:9], v[2:3], v[32:33]
	v_add_f64 v[36:37], v[34:35], v[4:5]
	v_add_f64 v[38:39], v[2:3], -v[32:33]
	v_add_f64 v[2:3], v[4:5], -v[34:35]
	s_waitcnt vmcnt(0)
	v_fma_f64 v[40:41], v[38:39], v[50:51], v[8:9]
	v_fma_f64 v[4:5], v[36:37], v[50:51], v[2:3]
	v_fma_f64 v[32:33], -v[38:39], v[50:51], v[8:9]
	v_fma_f64 v[34:35], v[36:37], v[50:51], -v[2:3]
	v_fma_f64 v[2:3], -v[36:37], v[48:49], v[40:41]
	v_fmac_f64_e32 v[4:5], v[38:39], v[48:49]
	v_fmac_f64_e32 v[32:33], v[36:37], v[48:49]
	;; [unrolled: 1-line block ×3, first 2 shown]
	ds_write_b128 v1, v[2:5] offset:20480
	ds_write_b128 v15, v[32:35] offset:28672
	s_waitcnt lgkmcnt(0)
	s_barrier
	s_barrier
	ds_read_b128 v[32:35], v1 offset:24576
	ds_read_b128 v[2:5], v1 offset:40960
	;; [unrolled: 1-line block ×7, first 2 shown]
	s_waitcnt lgkmcnt(5)
	v_add_f64 v[58:59], v[34:35], -v[4:5]
	s_waitcnt lgkmcnt(4)
	v_add_f64 v[68:69], v[38:39], v[34:35]
	v_add_f64 v[34:35], v[34:35], v[4:5]
	v_add_f64 v[8:9], v[36:37], v[32:33]
	v_add_f64 v[56:57], v[32:33], v[2:3]
	v_fmac_f64_e32 v[38:39], -0.5, v[34:35]
	v_add_f64 v[32:33], v[32:33], -v[2:3]
	v_fmac_f64_e32 v[36:37], -0.5, v[56:57]
	v_fma_f64 v[72:73], s[4:5], v[32:33], v[38:39]
	v_fmac_f64_e32 v[38:39], s[0:1], v[32:33]
	ds_read_b128 v[32:35], v1 offset:32768
	v_fma_f64 v[70:71], s[0:1], v[58:59], v[36:37]
	v_fmac_f64_e32 v[36:37], s[4:5], v[58:59]
	ds_read_b128 v[56:59], v1
	v_mul_f64 v[76:77], v[38:39], -0.5
	s_waitcnt lgkmcnt(1)
	v_add_f64 v[80:81], v[40:41], v[32:33]
	v_mul_f64 v[74:75], v[36:37], -0.5
	v_fmac_f64_e32 v[76:77], s[4:5], v[36:37]
	s_waitcnt lgkmcnt(0)
	v_add_f64 v[78:79], v[56:57], v[40:41]
	v_fmac_f64_e32 v[56:57], -0.5, v[80:81]
	v_add_f64 v[80:81], v[42:43], -v[34:35]
	v_fma_f64 v[82:83], s[0:1], v[80:81], v[56:57]
	v_fmac_f64_e32 v[56:57], s[4:5], v[80:81]
	v_add_f64 v[80:81], v[58:59], v[42:43]
	v_add_f64 v[42:43], v[42:43], v[34:35]
	v_fmac_f64_e32 v[58:59], -0.5, v[42:43]
	v_add_f64 v[40:41], v[40:41], -v[32:33]
	v_fma_f64 v[84:85], s[4:5], v[40:41], v[58:59]
	v_fmac_f64_e32 v[58:59], s[0:1], v[40:41]
	v_fmac_f64_e32 v[74:75], s[0:1], v[38:39]
	v_add_f64 v[42:43], v[58:59], v[76:77]
	v_add_f64 v[58:59], v[58:59], -v[76:77]
	v_add_f64 v[76:77], v[48:49], v[52:53]
	ds_read_b128 v[36:39], v1 offset:4096
	ds_read_b128 v[60:63], v1 offset:20480
	;; [unrolled: 1-line block ×3, first 2 shown]
	v_add_f64 v[40:41], v[56:57], v[74:75]
	v_add_f64 v[56:57], v[56:57], -v[74:75]
	v_add_f64 v[74:75], v[44:45], v[48:49]
	v_fmac_f64_e32 v[44:45], -0.5, v[76:77]
	v_add_f64 v[76:77], v[50:51], -v[54:55]
	v_fma_f64 v[86:87], s[0:1], v[76:77], v[44:45]
	v_fmac_f64_e32 v[44:45], s[4:5], v[76:77]
	v_add_f64 v[76:77], v[46:47], v[50:51]
	v_add_f64 v[50:51], v[50:51], v[54:55]
	v_fmac_f64_e32 v[46:47], -0.5, v[50:51]
	v_add_f64 v[48:49], v[48:49], -v[52:53]
	v_fma_f64 v[88:89], s[4:5], v[48:49], v[46:47]
	v_fmac_f64_e32 v[46:47], s[0:1], v[48:49]
	v_mul_f64 v[50:51], v[46:47], -0.5
	v_mul_f64 v[48:49], v[44:45], -0.5
	v_fmac_f64_e32 v[50:51], s[4:5], v[44:45]
	s_waitcnt lgkmcnt(0)
	v_add_f64 v[44:45], v[60:61], v[64:65]
	v_add_f64 v[90:91], v[36:37], v[60:61]
	v_fmac_f64_e32 v[36:37], -0.5, v[44:45]
	v_add_f64 v[44:45], v[62:63], -v[66:67]
	v_fma_f64 v[92:93], s[0:1], v[44:45], v[36:37]
	v_fmac_f64_e32 v[36:37], s[4:5], v[44:45]
	v_add_f64 v[44:45], v[62:63], v[66:67]
	v_add_f64 v[32:33], v[78:79], v[32:33]
	;; [unrolled: 1-line block ×3, first 2 shown]
	v_fmac_f64_e32 v[48:49], s[0:1], v[46:47]
	v_add_f64 v[94:95], v[38:39], v[62:63]
	v_fmac_f64_e32 v[38:39], -0.5, v[44:45]
	v_add_f64 v[44:45], v[60:61], -v[64:65]
	v_add_f64 v[2:3], v[32:33], v[8:9]
	v_add_f64 v[32:33], v[32:33], -v[8:9]
	v_mul_f64 v[8:9], v[72:73], s[0:1]
	v_fma_f64 v[96:97], s[4:5], v[44:45], v[38:39]
	v_fmac_f64_e32 v[38:39], s[0:1], v[44:45]
	v_add_f64 v[44:45], v[36:37], v[48:49]
	v_add_f64 v[36:37], v[36:37], -v[48:49]
	v_add_f64 v[34:35], v[80:81], v[34:35]
	v_add_f64 v[48:49], v[68:69], v[4:5]
	v_fmac_f64_e32 v[8:9], 0.5, v[70:71]
	v_add_f64 v[4:5], v[34:35], v[48:49]
	v_add_f64 v[34:35], v[34:35], -v[48:49]
	v_add_f64 v[48:49], v[82:83], v[8:9]
	v_add_f64 v[60:61], v[82:83], -v[8:9]
	v_add_f64 v[8:9], v[90:91], v[64:65]
	v_add_f64 v[64:65], v[74:75], v[52:53]
	v_mul_f64 v[62:63], v[70:71], s[4:5]
	v_add_f64 v[52:53], v[8:9], v[64:65]
	v_add_f64 v[64:65], v[8:9], -v[64:65]
	v_mul_f64 v[8:9], v[88:89], s[0:1]
	v_mul_f64 v[74:75], v[86:87], s[4:5]
	s_movk_i32 s0, 0x50
	v_fmac_f64_e32 v[62:63], 0.5, v[72:73]
	v_add_f64 v[66:67], v[94:95], v[66:67]
	v_add_f64 v[68:69], v[76:77], v[54:55]
	v_fmac_f64_e32 v[8:9], 0.5, v[86:87]
	v_fmac_f64_e32 v[74:75], 0.5, v[88:89]
	v_mad_u32_u24 v7, v14, s0, v1
	v_add_f64 v[46:47], v[38:39], v[50:51]
	v_add_f64 v[38:39], v[38:39], -v[50:51]
	v_add_f64 v[50:51], v[84:85], v[62:63]
	v_add_f64 v[62:63], v[84:85], -v[62:63]
	;; [unrolled: 2-line block ×3, first 2 shown]
	v_add_f64 v[68:69], v[92:93], v[8:9]
	v_add_f64 v[70:71], v[96:97], v[74:75]
	v_add_f64 v[72:73], v[92:93], -v[8:9]
	v_add_f64 v[74:75], v[96:97], -v[74:75]
	s_barrier
	ds_write_b128 v7, v[2:5]
	ds_write_b128 v7, v[48:51] offset:16
	ds_write_b128 v7, v[40:43] offset:32
	;; [unrolled: 1-line block ×11, first 2 shown]
	v_mul_lo_u16_e32 v7, 0xab, v0
	v_lshrrev_b16_e32 v25, 10, v7
	v_mul_lo_u16_e32 v2, 6, v25
	v_sub_u16_e32 v31, v0, v2
	v_mov_b32_e32 v9, 3
	v_mul_u32_u24_sdwa v2, v31, v9 dst_sel:DWORD dst_unused:UNUSED_PAD src0_sel:BYTE_0 src1_sel:DWORD
	v_lshlrev_b32_e32 v2, 4, v2
	s_waitcnt lgkmcnt(0)
	s_barrier
	global_load_dwordx4 v[32:35], v2, s[8:9]
	global_load_dwordx4 v[36:39], v2, s[8:9] offset:16
	s_mov_b32 s0, 0xffff
	v_mov_b32_e32 v3, 0x100
	v_bitop3_b32 v3, v14, s0, v3 bitop3:0xc8
	v_mul_u32_u24_e32 v15, 0xaaab, v3
	v_lshrrev_b32_e32 v86, 18, v15
	global_load_dwordx4 v[40:43], v2, s[8:9] offset:32
	v_mul_lo_u16_e32 v2, 6, v86
	v_sub_u16_e32 v87, v16, v2
	v_mul_lo_u16_e32 v2, 3, v87
	v_lshlrev_b32_e32 v8, 4, v2
	global_load_dwordx4 v[2:5], v8, s[8:9]
	global_load_dwordx4 v[44:47], v8, s[8:9] offset:16
	global_load_dwordx4 v[48:51], v8, s[8:9] offset:32
	v_mov_b32_e32 v8, 0x200
	v_bitop3_b32 v8, v14, s0, v8 bitop3:0xc8
	v_mul_u32_u24_e32 v8, 0xaaab, v8
	v_lshrrev_b32_e32 v88, 18, v8
	v_mul_lo_u16_e32 v52, 6, v88
	v_sub_u16_e32 v89, v30, v52
	v_mul_lo_u16_e32 v52, 3, v89
	v_lshlrev_b32_e32 v64, 4, v52
	global_load_dwordx4 v[52:55], v64, s[8:9]
	global_load_dwordx4 v[56:59], v64, s[8:9] offset:16
	global_load_dwordx4 v[60:63], v64, s[8:9] offset:32
	ds_read_b128 v[64:67], v6
	ds_read_b128 v[68:71], v1 offset:28672
	ds_read_b128 v[72:75], v1 offset:24576
	v_mul_u32_u24_e32 v25, 24, v25
	v_or_b32_sdwa v25, v25, v31 dst_sel:DWORD dst_unused:UNUSED_PAD src0_sel:DWORD src1_sel:BYTE_0
	v_lshl_add_u32 v25, v25, 4, 0
	s_mov_b64 s[4:5], 0x17a0
	s_waitcnt vmcnt(8) lgkmcnt(2)
	v_mul_f64 v[76:77], v[66:67], v[34:35]
	v_mul_f64 v[78:79], v[64:65], v[34:35]
	v_fma_f64 v[76:77], v[64:65], v[32:33], -v[76:77]
	v_fmac_f64_e32 v[78:79], v[66:67], v[32:33]
	ds_read_b128 v[32:35], v1 offset:20480
	ds_read_b128 v[64:67], v1 offset:36864
	s_waitcnt vmcnt(7) lgkmcnt(2)
	v_mul_f64 v[80:81], v[74:75], v[38:39]
	v_mul_f64 v[82:83], v[72:73], v[38:39]
	v_fma_f64 v[80:81], v[72:73], v[36:37], -v[80:81]
	v_fmac_f64_e32 v[82:83], v[74:75], v[36:37]
	ds_read_b128 v[36:39], v1 offset:32768
	ds_read_b128 v[72:75], v1 offset:16384
	s_waitcnt vmcnt(6) lgkmcnt(2)
	v_mul_f64 v[84:85], v[66:67], v[42:43]
	v_fma_f64 v[84:85], v[64:65], v[40:41], -v[84:85]
	v_mul_f64 v[64:65], v[64:65], v[42:43]
	v_fmac_f64_e32 v[64:65], v[66:67], v[40:41]
	ds_read_b128 v[40:43], v1 offset:8192
	s_waitcnt vmcnt(5) lgkmcnt(1)
	v_mul_f64 v[66:67], v[74:75], v[4:5]
	v_fma_f64 v[66:67], v[72:73], v[2:3], -v[66:67]
	v_mul_f64 v[72:73], v[72:73], v[4:5]
	v_fmac_f64_e32 v[72:73], v[74:75], v[2:3]
	ds_read_b128 v[2:5], v1 offset:40960
	s_waitcnt vmcnt(4)
	v_mul_f64 v[74:75], v[70:71], v[46:47]
	v_fma_f64 v[74:75], v[68:69], v[44:45], -v[74:75]
	v_mul_f64 v[68:69], v[68:69], v[46:47]
	v_fmac_f64_e32 v[68:69], v[70:71], v[44:45]
	ds_read_b128 v[44:47], v1 offset:45056
	s_waitcnt vmcnt(3) lgkmcnt(1)
	v_mul_f64 v[70:71], v[4:5], v[50:51]
	v_fma_f64 v[70:71], v[2:3], v[48:49], -v[70:71]
	v_mul_f64 v[50:51], v[2:3], v[50:51]
	s_waitcnt vmcnt(2)
	v_mul_f64 v[2:3], v[34:35], v[54:55]
	v_fmac_f64_e32 v[50:51], v[4:5], v[48:49]
	v_fma_f64 v[48:49], v[32:33], v[52:53], -v[2:3]
	v_mul_f64 v[54:55], v[32:33], v[54:55]
	s_waitcnt vmcnt(1)
	v_mul_f64 v[2:3], v[38:39], v[58:59]
	v_fmac_f64_e32 v[54:55], v[34:35], v[52:53]
	v_fma_f64 v[52:53], v[36:37], v[56:57], -v[2:3]
	ds_read_b128 v[2:5], v1
	v_mul_f64 v[58:59], v[36:37], v[58:59]
	s_waitcnt vmcnt(0) lgkmcnt(1)
	v_mul_f64 v[32:33], v[46:47], v[62:63]
	v_mul_f64 v[62:63], v[44:45], v[62:63]
	v_fmac_f64_e32 v[58:59], v[38:39], v[56:57]
	v_fma_f64 v[56:57], v[44:45], v[60:61], -v[32:33]
	ds_read_b128 v[32:35], v1 offset:4096
	v_fmac_f64_e32 v[62:63], v[46:47], v[60:61]
	s_waitcnt lgkmcnt(1)
	v_add_f64 v[44:45], v[2:3], -v[80:81]
	v_add_f64 v[46:47], v[4:5], -v[82:83]
	;; [unrolled: 1-line block ×4, first 2 shown]
	v_fma_f64 v[36:37], v[2:3], 2.0, -v[44:45]
	v_fma_f64 v[38:39], v[4:5], 2.0, -v[46:47]
	;; [unrolled: 1-line block ×4, first 2 shown]
	v_add_f64 v[2:3], v[36:37], -v[2:3]
	v_add_f64 v[4:5], v[38:39], -v[4:5]
	v_fma_f64 v[36:37], v[36:37], 2.0, -v[2:3]
	v_fma_f64 v[38:39], v[38:39], 2.0, -v[4:5]
	s_waitcnt lgkmcnt(0)
	s_barrier
	ds_write_b128 v25, v[36:39]
	v_add_f64 v[36:37], v[44:45], -v[64:65]
	v_add_f64 v[38:39], v[46:47], v[60:61]
	v_fma_f64 v[44:45], v[44:45], 2.0, -v[36:37]
	v_fma_f64 v[46:47], v[46:47], 2.0, -v[38:39]
	ds_write_b128 v25, v[44:47] offset:96
	ds_write_b128 v25, v[2:5] offset:192
	ds_write_b128 v25, v[36:39] offset:288
	v_add_f64 v[36:37], v[32:33], -v[74:75]
	v_add_f64 v[38:39], v[34:35], -v[68:69]
	;; [unrolled: 1-line block ×4, first 2 shown]
	v_mul_lo_u16_e32 v25, 24, v86
	v_fma_f64 v[32:33], v[32:33], 2.0, -v[36:37]
	v_fma_f64 v[34:35], v[34:35], 2.0, -v[38:39]
	;; [unrolled: 1-line block ×4, first 2 shown]
	v_or_b32_e32 v25, v25, v87
	v_add_f64 v[2:3], v[32:33], -v[2:3]
	v_add_f64 v[4:5], v[34:35], -v[4:5]
	v_and_b32_e32 v25, 0xffff, v25
	v_fma_f64 v[32:33], v[32:33], 2.0, -v[2:3]
	v_fma_f64 v[34:35], v[34:35], 2.0, -v[4:5]
	v_lshl_add_u32 v25, v25, 4, 0
	ds_write_b128 v25, v[32:35]
	v_add_f64 v[32:33], v[36:37], -v[46:47]
	v_add_f64 v[34:35], v[38:39], v[44:45]
	v_fma_f64 v[36:37], v[36:37], 2.0, -v[32:33]
	v_fma_f64 v[38:39], v[38:39], 2.0, -v[34:35]
	v_add_f64 v[52:53], v[40:41], -v[52:53]
	v_add_f64 v[58:59], v[42:43], -v[58:59]
	;; [unrolled: 1-line block ×4, first 2 shown]
	ds_write_b128 v25, v[36:39] offset:96
	ds_write_b128 v25, v[2:5] offset:192
	;; [unrolled: 1-line block ×3, first 2 shown]
	v_mul_lo_u16_e32 v2, 24, v88
	v_fma_f64 v[44:45], v[40:41], 2.0, -v[52:53]
	v_fma_f64 v[46:47], v[42:43], 2.0, -v[58:59]
	;; [unrolled: 1-line block ×4, first 2 shown]
	v_or_b32_e32 v2, v2, v89
	v_add_f64 v[40:41], v[44:45], -v[40:41]
	v_add_f64 v[42:43], v[46:47], -v[42:43]
	v_and_b32_e32 v2, 0xffff, v2
	v_fma_f64 v[44:45], v[44:45], 2.0, -v[40:41]
	v_fma_f64 v[46:47], v[46:47], 2.0, -v[42:43]
	v_add_f64 v[48:49], v[52:53], -v[56:57]
	v_add_f64 v[50:51], v[58:59], v[50:51]
	v_lshl_add_u32 v2, v2, 4, 0
	v_lshrrev_b16_e32 v25, 12, v7
	v_fma_f64 v[52:53], v[52:53], 2.0, -v[48:49]
	v_fma_f64 v[54:55], v[58:59], 2.0, -v[50:51]
	ds_write_b128 v2, v[44:47]
	ds_write_b128 v2, v[52:55] offset:96
	ds_write_b128 v2, v[40:43] offset:192
	;; [unrolled: 1-line block ×3, first 2 shown]
	v_mul_lo_u16_e32 v2, 24, v25
	v_sub_u16_e32 v31, v0, v2
	v_mul_u32_u24_sdwa v2, v31, v9 dst_sel:DWORD dst_unused:UNUSED_PAD src0_sel:BYTE_0 src1_sel:DWORD
	v_lshlrev_b32_e32 v40, 4, v2
	s_waitcnt lgkmcnt(0)
	s_barrier
	global_load_dwordx4 v[2:5], v40, s[8:9] offset:288
	global_load_dwordx4 v[32:35], v40, s[8:9] offset:304
	;; [unrolled: 1-line block ×3, first 2 shown]
	v_lshrrev_b32_e32 v86, 20, v15
	v_mul_lo_u16_e32 v40, 24, v86
	v_sub_u16_e32 v87, v16, v40
	v_mul_lo_u16_e32 v40, 3, v87
	v_lshlrev_b32_e32 v52, 4, v40
	global_load_dwordx4 v[40:43], v52, s[8:9] offset:288
	global_load_dwordx4 v[44:47], v52, s[8:9] offset:304
	;; [unrolled: 1-line block ×3, first 2 shown]
	v_lshrrev_b32_e32 v88, 20, v8
	v_mul_lo_u16_e32 v52, 24, v88
	v_sub_u16_e32 v89, v30, v52
	v_mul_lo_u16_e32 v52, 3, v89
	v_lshlrev_b32_e32 v64, 4, v52
	global_load_dwordx4 v[52:55], v64, s[8:9] offset:288
	global_load_dwordx4 v[56:59], v64, s[8:9] offset:304
	;; [unrolled: 1-line block ×3, first 2 shown]
	ds_read_b128 v[64:67], v6
	ds_read_b128 v[68:71], v1 offset:28672
	ds_read_b128 v[72:75], v1 offset:24576
	v_mul_u32_u24_e32 v25, 0x60, v25
	v_or_b32_sdwa v25, v25, v31 dst_sel:DWORD dst_unused:UNUSED_PAD src0_sel:DWORD src1_sel:BYTE_0
	v_lshl_add_u32 v25, v25, 4, 0
	v_lshrrev_b16_e32 v7, 14, v7
	v_lshrrev_b32_e32 v15, 22, v15
	s_waitcnt vmcnt(8) lgkmcnt(2)
	v_mul_f64 v[76:77], v[66:67], v[4:5]
	v_mul_f64 v[78:79], v[64:65], v[4:5]
	v_fma_f64 v[76:77], v[64:65], v[2:3], -v[76:77]
	v_fmac_f64_e32 v[78:79], v[66:67], v[2:3]
	ds_read_b128 v[2:5], v1 offset:20480
	ds_read_b128 v[64:67], v1 offset:36864
	s_waitcnt vmcnt(7) lgkmcnt(2)
	v_mul_f64 v[80:81], v[74:75], v[34:35]
	v_mul_f64 v[82:83], v[72:73], v[34:35]
	v_fma_f64 v[80:81], v[72:73], v[32:33], -v[80:81]
	v_fmac_f64_e32 v[82:83], v[74:75], v[32:33]
	ds_read_b128 v[32:35], v1 offset:32768
	ds_read_b128 v[72:75], v1 offset:16384
	s_waitcnt vmcnt(6) lgkmcnt(2)
	v_mul_f64 v[84:85], v[66:67], v[38:39]
	v_fma_f64 v[84:85], v[64:65], v[36:37], -v[84:85]
	v_mul_f64 v[64:65], v[64:65], v[38:39]
	v_fmac_f64_e32 v[64:65], v[66:67], v[36:37]
	ds_read_b128 v[36:39], v1 offset:8192
	s_waitcnt vmcnt(5) lgkmcnt(1)
	v_mul_f64 v[66:67], v[74:75], v[42:43]
	v_fma_f64 v[66:67], v[72:73], v[40:41], -v[66:67]
	v_mul_f64 v[72:73], v[72:73], v[42:43]
	v_fmac_f64_e32 v[72:73], v[74:75], v[40:41]
	ds_read_b128 v[40:43], v1 offset:40960
	s_waitcnt vmcnt(4)
	v_mul_f64 v[74:75], v[70:71], v[46:47]
	v_fma_f64 v[74:75], v[68:69], v[44:45], -v[74:75]
	v_mul_f64 v[68:69], v[68:69], v[46:47]
	v_fmac_f64_e32 v[68:69], v[70:71], v[44:45]
	ds_read_b128 v[44:47], v1 offset:45056
	s_waitcnt vmcnt(3) lgkmcnt(1)
	v_mul_f64 v[70:71], v[42:43], v[50:51]
	v_fma_f64 v[70:71], v[40:41], v[48:49], -v[70:71]
	v_mul_f64 v[50:51], v[40:41], v[50:51]
	s_waitcnt vmcnt(2)
	v_mul_f64 v[40:41], v[4:5], v[54:55]
	v_fmac_f64_e32 v[50:51], v[42:43], v[48:49]
	v_fma_f64 v[48:49], v[2:3], v[52:53], -v[40:41]
	v_mul_f64 v[54:55], v[2:3], v[54:55]
	s_waitcnt vmcnt(1)
	v_mul_f64 v[2:3], v[34:35], v[58:59]
	v_fmac_f64_e32 v[54:55], v[4:5], v[52:53]
	v_fma_f64 v[52:53], v[32:33], v[56:57], -v[2:3]
	ds_read_b128 v[2:5], v1
	v_mul_f64 v[58:59], v[32:33], v[58:59]
	s_waitcnt vmcnt(0) lgkmcnt(1)
	v_mul_f64 v[32:33], v[46:47], v[62:63]
	v_mul_f64 v[62:63], v[44:45], v[62:63]
	v_fmac_f64_e32 v[58:59], v[34:35], v[56:57]
	v_fma_f64 v[56:57], v[44:45], v[60:61], -v[32:33]
	ds_read_b128 v[32:35], v1 offset:4096
	v_fmac_f64_e32 v[62:63], v[46:47], v[60:61]
	s_waitcnt lgkmcnt(1)
	v_add_f64 v[44:45], v[2:3], -v[80:81]
	v_add_f64 v[46:47], v[4:5], -v[82:83]
	;; [unrolled: 1-line block ×4, first 2 shown]
	v_fma_f64 v[40:41], v[2:3], 2.0, -v[44:45]
	v_fma_f64 v[42:43], v[4:5], 2.0, -v[46:47]
	;; [unrolled: 1-line block ×4, first 2 shown]
	v_add_f64 v[2:3], v[40:41], -v[2:3]
	v_add_f64 v[4:5], v[42:43], -v[4:5]
	v_fma_f64 v[40:41], v[40:41], 2.0, -v[2:3]
	v_fma_f64 v[42:43], v[42:43], 2.0, -v[4:5]
	s_waitcnt lgkmcnt(0)
	s_barrier
	ds_write_b128 v25, v[40:43]
	v_add_f64 v[40:41], v[44:45], -v[64:65]
	v_add_f64 v[42:43], v[46:47], v[60:61]
	v_fma_f64 v[44:45], v[44:45], 2.0, -v[40:41]
	v_fma_f64 v[46:47], v[46:47], 2.0, -v[42:43]
	ds_write_b128 v25, v[44:47] offset:384
	ds_write_b128 v25, v[2:5] offset:768
	;; [unrolled: 1-line block ×3, first 2 shown]
	v_add_f64 v[40:41], v[32:33], -v[74:75]
	v_add_f64 v[42:43], v[34:35], -v[68:69]
	;; [unrolled: 1-line block ×4, first 2 shown]
	v_mul_lo_u16_e32 v25, 0x60, v86
	v_fma_f64 v[32:33], v[32:33], 2.0, -v[40:41]
	v_fma_f64 v[34:35], v[34:35], 2.0, -v[42:43]
	;; [unrolled: 1-line block ×4, first 2 shown]
	v_or_b32_e32 v25, v25, v87
	v_add_f64 v[2:3], v[32:33], -v[2:3]
	v_add_f64 v[4:5], v[34:35], -v[4:5]
	v_and_b32_e32 v25, 0xffff, v25
	v_fma_f64 v[32:33], v[32:33], 2.0, -v[2:3]
	v_fma_f64 v[34:35], v[34:35], 2.0, -v[4:5]
	v_lshl_add_u32 v25, v25, 4, 0
	ds_write_b128 v25, v[32:35]
	v_add_f64 v[32:33], v[40:41], -v[46:47]
	v_add_f64 v[34:35], v[42:43], v[44:45]
	v_fma_f64 v[40:41], v[40:41], 2.0, -v[32:33]
	v_fma_f64 v[42:43], v[42:43], 2.0, -v[34:35]
	v_add_f64 v[52:53], v[36:37], -v[52:53]
	v_add_f64 v[58:59], v[38:39], -v[58:59]
	;; [unrolled: 1-line block ×4, first 2 shown]
	ds_write_b128 v25, v[40:43] offset:384
	ds_write_b128 v25, v[2:5] offset:768
	;; [unrolled: 1-line block ×3, first 2 shown]
	v_mul_lo_u16_e32 v2, 0x60, v88
	v_fma_f64 v[44:45], v[36:37], 2.0, -v[52:53]
	v_fma_f64 v[46:47], v[38:39], 2.0, -v[58:59]
	;; [unrolled: 1-line block ×4, first 2 shown]
	v_or_b32_e32 v2, v2, v89
	v_add_f64 v[36:37], v[44:45], -v[36:37]
	v_add_f64 v[38:39], v[46:47], -v[38:39]
	v_and_b32_e32 v2, 0xffff, v2
	v_fma_f64 v[44:45], v[44:45], 2.0, -v[36:37]
	v_fma_f64 v[46:47], v[46:47], 2.0, -v[38:39]
	v_add_f64 v[48:49], v[52:53], -v[56:57]
	v_add_f64 v[50:51], v[58:59], v[50:51]
	v_lshl_add_u32 v2, v2, 4, 0
	v_fma_f64 v[52:53], v[52:53], 2.0, -v[48:49]
	v_fma_f64 v[54:55], v[58:59], 2.0, -v[50:51]
	ds_write_b128 v2, v[44:47]
	ds_write_b128 v2, v[52:55] offset:384
	ds_write_b128 v2, v[36:39] offset:768
	ds_write_b128 v2, v[48:51] offset:1152
	v_mul_lo_u16_e32 v2, 0x60, v7
	v_sub_u16_e32 v0, v0, v2
	v_mul_u32_u24_sdwa v2, v0, v9 dst_sel:DWORD dst_unused:UNUSED_PAD src0_sel:BYTE_0 src1_sel:DWORD
	v_lshlrev_b32_e32 v9, 4, v2
	s_waitcnt lgkmcnt(0)
	s_barrier
	global_load_dwordx4 v[2:5], v9, s[8:9] offset:1440
	global_load_dwordx4 v[32:35], v9, s[8:9] offset:1456
	;; [unrolled: 1-line block ×3, first 2 shown]
	v_mul_lo_u16_e32 v9, 0x60, v15
	v_sub_u16_e32 v25, v16, v9
	v_mul_lo_u16_e32 v9, 3, v25
	v_lshlrev_b32_e32 v9, 4, v9
	global_load_dwordx4 v[40:43], v9, s[8:9] offset:1440
	global_load_dwordx4 v[44:47], v9, s[8:9] offset:1456
	;; [unrolled: 1-line block ×3, first 2 shown]
	v_lshrrev_b32_e32 v84, 22, v8
	v_mul_lo_u16_e32 v8, 0x60, v84
	v_sub_u16_e32 v85, v30, v8
	v_mul_lo_u16_e32 v8, 3, v85
	v_lshlrev_b32_e32 v8, 4, v8
	global_load_dwordx4 v[52:55], v8, s[8:9] offset:1440
	global_load_dwordx4 v[56:59], v8, s[8:9] offset:1456
	global_load_dwordx4 v[60:63], v8, s[8:9] offset:1472
	ds_read_b128 v[64:67], v6
	ds_read_b128 v[68:71], v1 offset:28672
	ds_read_b128 v[72:75], v1 offset:24576
	v_mul_u32_u24_e32 v7, 0x180, v7
	v_or_b32_sdwa v0, v7, v0 dst_sel:DWORD dst_unused:UNUSED_PAD src0_sel:DWORD src1_sel:BYTE_0
	v_lshl_add_u32 v0, v0, 4, 0
	s_waitcnt vmcnt(8) lgkmcnt(2)
	v_mul_f64 v[8:9], v[66:67], v[4:5]
	v_mul_f64 v[76:77], v[64:65], v[4:5]
	v_fma_f64 v[8:9], v[64:65], v[2:3], -v[8:9]
	v_fmac_f64_e32 v[76:77], v[66:67], v[2:3]
	ds_read_b128 v[2:5], v1 offset:20480
	ds_read_b128 v[64:67], v1 offset:36864
	s_waitcnt vmcnt(7) lgkmcnt(2)
	v_mul_f64 v[30:31], v[74:75], v[34:35]
	v_mul_f64 v[80:81], v[72:73], v[34:35]
	v_fma_f64 v[78:79], v[72:73], v[32:33], -v[30:31]
	v_fmac_f64_e32 v[80:81], v[74:75], v[32:33]
	ds_read_b128 v[30:33], v1 offset:32768
	ds_read_b128 v[72:75], v1 offset:16384
	s_waitcnt vmcnt(6) lgkmcnt(2)
	v_mul_f64 v[34:35], v[66:67], v[38:39]
	v_fma_f64 v[82:83], v[64:65], v[36:37], -v[34:35]
	v_mul_f64 v[64:65], v[64:65], v[38:39]
	v_fmac_f64_e32 v[64:65], v[66:67], v[36:37]
	ds_read_b128 v[34:37], v1 offset:8192
	s_waitcnt vmcnt(5) lgkmcnt(1)
	v_mul_f64 v[38:39], v[74:75], v[42:43]
	v_fma_f64 v[66:67], v[72:73], v[40:41], -v[38:39]
	v_mul_f64 v[72:73], v[72:73], v[42:43]
	v_fmac_f64_e32 v[72:73], v[74:75], v[40:41]
	ds_read_b128 v[38:41], v1 offset:40960
	s_waitcnt vmcnt(4)
	v_mul_f64 v[42:43], v[70:71], v[46:47]
	v_mul_f64 v[46:47], v[68:69], v[46:47]
	v_fma_f64 v[74:75], v[68:69], v[44:45], -v[42:43]
	v_fmac_f64_e32 v[46:47], v[70:71], v[44:45]
	ds_read_b128 v[42:45], v1 offset:45056
	s_waitcnt vmcnt(3) lgkmcnt(1)
	v_mul_f64 v[68:69], v[40:41], v[50:51]
	v_fma_f64 v[68:69], v[38:39], v[48:49], -v[68:69]
	v_mul_f64 v[50:51], v[38:39], v[50:51]
	s_waitcnt vmcnt(2)
	v_mul_f64 v[38:39], v[4:5], v[54:55]
	v_fma_f64 v[70:71], v[2:3], v[52:53], -v[38:39]
	v_mul_f64 v[54:55], v[2:3], v[54:55]
	s_waitcnt vmcnt(1)
	v_mul_f64 v[2:3], v[32:33], v[58:59]
	v_fmac_f64_e32 v[54:55], v[4:5], v[52:53]
	v_fma_f64 v[52:53], v[30:31], v[56:57], -v[2:3]
	ds_read_b128 v[2:5], v1
	v_mul_f64 v[58:59], v[30:31], v[58:59]
	s_waitcnt vmcnt(0) lgkmcnt(1)
	v_mul_f64 v[30:31], v[44:45], v[62:63]
	v_mul_f64 v[62:63], v[42:43], v[62:63]
	v_fmac_f64_e32 v[50:51], v[40:41], v[48:49]
	v_fmac_f64_e32 v[58:59], v[32:33], v[56:57]
	v_fma_f64 v[56:57], v[42:43], v[60:61], -v[30:31]
	ds_read_b128 v[30:33], v1 offset:4096
	v_fmac_f64_e32 v[62:63], v[44:45], v[60:61]
	s_waitcnt lgkmcnt(1)
	v_add_f64 v[42:43], v[2:3], -v[78:79]
	v_add_f64 v[44:45], v[4:5], -v[80:81]
	;; [unrolled: 1-line block ×4, first 2 shown]
	v_fma_f64 v[38:39], v[2:3], 2.0, -v[42:43]
	v_fma_f64 v[40:41], v[4:5], 2.0, -v[44:45]
	;; [unrolled: 1-line block ×4, first 2 shown]
	v_add_f64 v[2:3], v[38:39], -v[2:3]
	v_add_f64 v[4:5], v[40:41], -v[4:5]
	v_fma_f64 v[38:39], v[38:39], 2.0, -v[2:3]
	v_fma_f64 v[40:41], v[40:41], 2.0, -v[4:5]
	s_waitcnt lgkmcnt(0)
	s_barrier
	ds_write_b128 v0, v[38:41]
	v_add_f64 v[38:39], v[42:43], -v[60:61]
	v_add_f64 v[40:41], v[44:45], v[48:49]
	v_fma_f64 v[42:43], v[42:43], 2.0, -v[38:39]
	v_fma_f64 v[44:45], v[44:45], 2.0, -v[40:41]
	ds_write_b128 v0, v[42:45] offset:1536
	ds_write_b128 v0, v[2:5] offset:3072
	v_add_f64 v[8:9], v[30:31], -v[74:75]
	v_add_f64 v[48:49], v[32:33], -v[46:47]
	v_add_f64 v[44:45], v[66:67], -v[68:69]
	v_add_f64 v[42:43], v[72:73], -v[50:51]
	ds_write_b128 v0, v[38:41] offset:4608
	v_mul_lo_u16_e32 v0, 0x180, v15
	v_fma_f64 v[30:31], v[30:31], 2.0, -v[8:9]
	v_fma_f64 v[32:33], v[32:33], 2.0, -v[48:49]
	;; [unrolled: 1-line block ×4, first 2 shown]
	v_or_b32_e32 v0, v0, v25
	v_add_f64 v[2:3], v[30:31], -v[2:3]
	v_add_f64 v[4:5], v[32:33], -v[4:5]
	v_and_b32_e32 v0, 0xffff, v0
	v_fma_f64 v[30:31], v[30:31], 2.0, -v[2:3]
	v_fma_f64 v[32:33], v[32:33], 2.0, -v[4:5]
	v_add_f64 v[42:43], v[8:9], -v[42:43]
	v_add_f64 v[44:45], v[48:49], v[44:45]
	v_lshl_add_u32 v0, v0, 4, 0
	v_fma_f64 v[46:47], v[8:9], 2.0, -v[42:43]
	v_fma_f64 v[48:49], v[48:49], 2.0, -v[44:45]
	v_add_f64 v[8:9], v[34:35], -v[52:53]
	v_add_f64 v[60:61], v[36:37], -v[58:59]
	;; [unrolled: 1-line block ×4, first 2 shown]
	ds_write_b128 v0, v[30:33]
	ds_write_b128 v0, v[46:49] offset:1536
	ds_write_b128 v0, v[2:5] offset:3072
	;; [unrolled: 1-line block ×3, first 2 shown]
	v_mul_lo_u16_e32 v0, 0x180, v84
	v_fma_f64 v[50:51], v[34:35], 2.0, -v[8:9]
	v_fma_f64 v[52:53], v[36:37], 2.0, -v[60:61]
	;; [unrolled: 1-line block ×4, first 2 shown]
	v_or_b32_e32 v0, v0, v85
	v_add_f64 v[34:35], v[50:51], -v[34:35]
	v_add_f64 v[36:37], v[52:53], -v[36:37]
	v_and_b32_e32 v0, 0xffff, v0
	v_fma_f64 v[50:51], v[50:51], 2.0, -v[34:35]
	v_fma_f64 v[52:53], v[52:53], 2.0, -v[36:37]
	v_add_f64 v[54:55], v[8:9], -v[58:59]
	v_add_f64 v[56:57], v[60:61], v[56:57]
	v_lshl_add_u32 v0, v0, 4, 0
	v_fma_f64 v[58:59], v[8:9], 2.0, -v[54:55]
	v_fma_f64 v[60:61], v[60:61], 2.0, -v[56:57]
	ds_write_b128 v0, v[50:53]
	ds_write_b128 v0, v[58:61] offset:1536
	ds_write_b128 v0, v[34:37] offset:3072
	;; [unrolled: 1-line block ×3, first 2 shown]
	v_mul_u32_u24_e32 v0, 3, v14
	v_lshlrev_b32_e32 v2, 4, v0
	v_mov_b32_e32 v3, v17
	v_lshl_add_u64 v[8:9], s[8:9], 0, v[2:3]
	v_add_co_u32_e64 v2, s[0:1], s10, v8
	s_waitcnt lgkmcnt(0)
	s_nop 0
	v_addc_co_u32_e64 v3, s[0:1], 0, v9, s[0:1]
	s_barrier
	global_load_dwordx4 v[2:5], v[2:3], off offset:1952
	s_movk_i32 s0, 0x180
	v_lshl_add_u64 v[38:39], v[8:9], 0, s[4:5]
	v_add_u32_e32 v0, 0xffffff80, v14
	v_cmp_gt_u32_e64 s[0:1], s0, v16
	global_load_dwordx4 v[30:33], v[38:39], off offset:16
	global_load_dwordx4 v[34:37], v[38:39], off offset:32
	v_cndmask_b32_e64 v0, v0, v16, s[0:1]
	v_mul_i32_i24_e32 v38, 3, v0
	v_mov_b32_e32 v39, v17
	v_lshl_add_u64 v[42:43], v[38:39], 4, s[8:9]
	v_add_co_u32_e64 v38, s[0:1], s10, v42
	v_lshl_add_u64 v[50:51], v[42:43], 0, s[4:5]
	s_nop 0
	v_addc_co_u32_e64 v39, s[0:1], 0, v43, s[0:1]
	global_load_dwordx4 v[38:41], v[38:39], off offset:1952
	s_movk_i32 s0, 0x2000
	global_load_dwordx4 v[42:45], v[50:51], off offset:16
	global_load_dwordx4 v[46:49], v[50:51], off offset:32
	v_add_co_u32_e64 v50, s[0:1], s0, v8
	s_movk_i32 s4, 0x5000
	s_nop 0
	v_addc_co_u32_e64 v51, s[0:1], 0, v9, s[0:1]
	global_load_dwordx4 v[50:53], v[50:51], off offset:4000
	s_mov_b64 s[0:1], 0x2fa0
	v_lshl_add_u64 v[8:9], v[8:9], 0, s[0:1]
	global_load_dwordx4 v[54:57], v[8:9], off offset:16
	global_load_dwordx4 v[58:61], v[8:9], off offset:32
	ds_read_b128 v[62:65], v6
	ds_read_b128 v[66:69], v1 offset:28672
	ds_read_b128 v[70:73], v1 offset:24576
	s_movk_i32 s0, 0x17f
	v_cmp_lt_u32_e64 s[0:1], s0, v16
	v_mov_b32_e32 v25, v17
	s_waitcnt vmcnt(8) lgkmcnt(2)
	v_mul_f64 v[8:9], v[64:65], v[4:5]
	v_mul_f64 v[74:75], v[62:63], v[4:5]
	v_fma_f64 v[8:9], v[62:63], v[2:3], -v[8:9]
	v_fmac_f64_e32 v[74:75], v[64:65], v[2:3]
	ds_read_b128 v[2:5], v1 offset:20480
	ds_read_b128 v[62:65], v1 offset:36864
	s_waitcnt vmcnt(7) lgkmcnt(2)
	v_mul_f64 v[76:77], v[72:73], v[32:33]
	v_mul_f64 v[78:79], v[70:71], v[32:33]
	v_fma_f64 v[76:77], v[70:71], v[30:31], -v[76:77]
	v_fmac_f64_e32 v[78:79], v[72:73], v[30:31]
	ds_read_b128 v[30:33], v1 offset:32768
	ds_read_b128 v[70:73], v1 offset:16384
	s_waitcnt vmcnt(6) lgkmcnt(2)
	v_mul_f64 v[80:81], v[64:65], v[36:37]
	v_fma_f64 v[80:81], v[62:63], v[34:35], -v[80:81]
	v_mul_f64 v[62:63], v[62:63], v[36:37]
	v_fmac_f64_e32 v[62:63], v[64:65], v[34:35]
	ds_read_b128 v[34:37], v1 offset:8192
	s_waitcnt vmcnt(5) lgkmcnt(1)
	v_mul_f64 v[64:65], v[72:73], v[40:41]
	v_fma_f64 v[64:65], v[70:71], v[38:39], -v[64:65]
	v_mul_f64 v[70:71], v[70:71], v[40:41]
	v_fmac_f64_e32 v[70:71], v[72:73], v[38:39]
	ds_read_b128 v[38:41], v1 offset:40960
	s_waitcnt vmcnt(4)
	v_mul_f64 v[72:73], v[68:69], v[44:45]
	v_fma_f64 v[72:73], v[66:67], v[42:43], -v[72:73]
	v_mul_f64 v[66:67], v[66:67], v[44:45]
	v_fmac_f64_e32 v[66:67], v[68:69], v[42:43]
	ds_read_b128 v[42:45], v1 offset:45056
	s_waitcnt vmcnt(3) lgkmcnt(1)
	v_mul_f64 v[68:69], v[40:41], v[48:49]
	v_fma_f64 v[68:69], v[38:39], v[46:47], -v[68:69]
	v_mul_f64 v[48:49], v[38:39], v[48:49]
	s_waitcnt vmcnt(2)
	v_mul_f64 v[38:39], v[4:5], v[52:53]
	v_fma_f64 v[82:83], v[2:3], v[50:51], -v[38:39]
	v_mul_f64 v[84:85], v[2:3], v[52:53]
	s_waitcnt vmcnt(1)
	v_mul_f64 v[2:3], v[32:33], v[56:57]
	v_fmac_f64_e32 v[84:85], v[4:5], v[50:51]
	v_fma_f64 v[86:87], v[30:31], v[54:55], -v[2:3]
	ds_read_b128 v[2:5], v1
	v_mul_f64 v[56:57], v[30:31], v[56:57]
	s_waitcnt vmcnt(0) lgkmcnt(1)
	v_mul_f64 v[30:31], v[44:45], v[60:61]
	v_mul_f64 v[60:61], v[42:43], v[60:61]
	v_fmac_f64_e32 v[48:49], v[40:41], v[46:47]
	v_fmac_f64_e32 v[56:57], v[32:33], v[54:55]
	v_fma_f64 v[54:55], v[42:43], v[58:59], -v[30:31]
	ds_read_b128 v[30:33], v1 offset:4096
	v_fmac_f64_e32 v[60:61], v[44:45], v[58:59]
	s_waitcnt lgkmcnt(1)
	v_add_f64 v[42:43], v[2:3], -v[76:77]
	v_add_f64 v[44:45], v[4:5], -v[78:79]
	;; [unrolled: 1-line block ×4, first 2 shown]
	v_fma_f64 v[38:39], v[2:3], 2.0, -v[42:43]
	v_fma_f64 v[40:41], v[4:5], 2.0, -v[44:45]
	;; [unrolled: 1-line block ×4, first 2 shown]
	v_add_f64 v[2:3], v[38:39], -v[2:3]
	v_add_f64 v[4:5], v[40:41], -v[4:5]
	v_fma_f64 v[38:39], v[38:39], 2.0, -v[2:3]
	v_fma_f64 v[40:41], v[40:41], 2.0, -v[4:5]
	s_waitcnt lgkmcnt(0)
	s_barrier
	ds_write_b128 v1, v[38:41]
	v_add_f64 v[38:39], v[42:43], -v[50:51]
	v_add_f64 v[40:41], v[44:45], v[46:47]
	v_fma_f64 v[42:43], v[42:43], 2.0, -v[38:39]
	v_fma_f64 v[44:45], v[44:45], 2.0, -v[40:41]
	v_add_f64 v[8:9], v[30:31], -v[72:73]
	v_add_f64 v[52:53], v[32:33], -v[66:67]
	;; [unrolled: 1-line block ×3, first 2 shown]
	ds_write_b128 v1, v[42:45] offset:6144
	v_fma_f64 v[44:45], v[32:33], 2.0, -v[52:53]
	v_add_f64 v[50:51], v[64:65], -v[68:69]
	v_fma_f64 v[32:33], v[70:71], 2.0, -v[46:47]
	v_add_f64 v[46:47], v[8:9], -v[46:47]
	v_fma_f64 v[42:43], v[30:31], 2.0, -v[8:9]
	v_fma_f64 v[30:31], v[64:65], 2.0, -v[50:51]
	v_add_f64 v[48:49], v[52:53], v[50:51]
	v_fma_f64 v[50:51], v[8:9], 2.0, -v[46:47]
	v_add_f64 v[8:9], v[34:35], -v[86:87]
	v_add_f64 v[64:65], v[36:37], -v[56:57]
	v_add_f64 v[62:63], v[82:83], -v[54:55]
	v_add_f64 v[60:61], v[84:85], -v[60:61]
	v_fma_f64 v[56:57], v[34:35], 2.0, -v[8:9]
	v_fma_f64 v[58:59], v[36:37], 2.0, -v[64:65]
	;; [unrolled: 1-line block ×4, first 2 shown]
	ds_write_b128 v1, v[2:5] offset:12288
	ds_write_b128 v1, v[38:41] offset:18432
	v_mov_b32_e32 v2, 0x600
	v_add_f64 v[34:35], v[56:57], -v[34:35]
	v_add_f64 v[36:37], v[58:59], -v[36:37]
	v_cndmask_b32_e64 v2, 0, v2, s[0:1]
	v_fma_f64 v[54:55], v[56:57], 2.0, -v[34:35]
	v_fma_f64 v[56:57], v[58:59], 2.0, -v[36:37]
	v_add_f64 v[58:59], v[8:9], -v[60:61]
	v_or_b32_e32 v0, v2, v0
	v_lshl_add_u64 v[2:3], v[18:19], 4, s[8:9]
	v_add_f64 v[30:31], v[42:43], -v[30:31]
	v_add_f64 v[32:33], v[44:45], -v[32:33]
	v_add_f64 v[60:61], v[64:65], v[62:63]
	v_fma_f64 v[62:63], v[8:9], 2.0, -v[58:59]
	v_add_co_u32_e64 v8, s[0:1], s4, v2
	v_fma_f64 v[42:43], v[42:43], 2.0, -v[30:31]
	v_fma_f64 v[44:45], v[44:45], 2.0, -v[32:33]
	v_lshl_add_u32 v0, v0, 4, 0
	v_addc_co_u32_e64 v9, s[0:1], 0, v3, s[0:1]
	v_lshl_add_u64 v[2:3], s[8:9], 0, v[20:21]
	v_fma_f64 v[52:53], v[52:53], 2.0, -v[48:49]
	v_fma_f64 v[64:65], v[64:65], 2.0, -v[60:61]
	ds_write_b128 v0, v[42:45]
	ds_write_b128 v0, v[50:53] offset:6144
	ds_write_b128 v0, v[30:33] offset:12288
	;; [unrolled: 1-line block ×7, first 2 shown]
	v_add_co_u32_e64 v30, s[0:1], s4, v2
	s_waitcnt lgkmcnt(0)
	s_barrier
	v_addc_co_u32_e64 v31, s[0:1], 0, v3, s[0:1]
	global_load_dwordx4 v[2:5], v[8:9], off offset:4000
	global_load_dwordx4 v[18:21], v[30:31], off offset:4000
	v_lshl_add_u64 v[8:9], s[8:9], 0, v[22:23]
	v_add_co_u32_e64 v8, s[0:1], s4, v8
	s_nop 1
	v_addc_co_u32_e64 v9, s[0:1], 0, v9, s[0:1]
	global_load_dwordx4 v[30:33], v[8:9], off offset:4000
	v_lshl_add_u64 v[8:9], s[8:9], 0, v[24:25]
	v_add_co_u32_e64 v8, s[0:1], s4, v8
	s_nop 1
	v_addc_co_u32_e64 v9, s[0:1], 0, v9, s[0:1]
	;; [unrolled: 5-line block ×4, first 2 shown]
	global_load_dwordx4 v[26:29], v[8:9], off offset:4000
	ds_read_b128 v[38:41], v1 offset:24576
	ds_read_b128 v[42:45], v1
	ds_read_b128 v[46:49], v1 offset:4096
	ds_read_b128 v[50:53], v1 offset:28672
	ds_read_b128 v[54:57], v6
	ds_read_b128 v[58:61], v1 offset:20480
	s_waitcnt vmcnt(5) lgkmcnt(5)
	v_mul_f64 v[8:9], v[40:41], v[4:5]
	v_fma_f64 v[8:9], v[38:39], v[2:3], -v[8:9]
	v_mul_f64 v[38:39], v[38:39], v[4:5]
	v_fmac_f64_e32 v[38:39], v[40:41], v[2:3]
	s_waitcnt vmcnt(4) lgkmcnt(2)
	v_mul_f64 v[40:41], v[52:53], v[20:21]
	ds_read_b128 v[2:5], v1 offset:32768
	v_fma_f64 v[40:41], v[50:51], v[18:19], -v[40:41]
	v_mul_f64 v[50:51], v[50:51], v[20:21]
	v_fmac_f64_e32 v[50:51], v[52:53], v[18:19]
	ds_read_b128 v[18:21], v1 offset:36864
	s_waitcnt vmcnt(3) lgkmcnt(1)
	v_mul_f64 v[52:53], v[4:5], v[32:33]
	v_mul_f64 v[62:63], v[2:3], v[32:33]
	v_fma_f64 v[52:53], v[2:3], v[30:31], -v[52:53]
	v_fmac_f64_e32 v[62:63], v[4:5], v[30:31]
	ds_read_b128 v[2:5], v1 offset:40960
	s_waitcnt vmcnt(2) lgkmcnt(1)
	v_mul_f64 v[30:31], v[20:21], v[24:25]
	v_mul_f64 v[66:67], v[18:19], v[24:25]
	v_fma_f64 v[64:65], v[18:19], v[22:23], -v[30:31]
	v_fmac_f64_e32 v[66:67], v[20:21], v[22:23]
	ds_read_b128 v[18:21], v1 offset:45056
	v_add_f64 v[24:25], v[44:45], -v[38:39]
	v_add_f64 v[30:31], v[46:47], -v[40:41]
	s_waitcnt vmcnt(1) lgkmcnt(1)
	v_mul_f64 v[22:23], v[4:5], v[36:37]
	v_fma_f64 v[68:69], v[2:3], v[34:35], -v[22:23]
	v_mul_f64 v[70:71], v[2:3], v[36:37]
	v_fmac_f64_e32 v[70:71], v[4:5], v[34:35]
	v_add_f64 v[22:23], v[42:43], -v[8:9]
	v_add_f64 v[32:33], v[48:49], -v[50:51]
	v_fma_f64 v[34:35], v[46:47], 2.0, -v[30:31]
	s_waitcnt vmcnt(0) lgkmcnt(0)
	v_mul_f64 v[2:3], v[20:21], v[28:29]
	v_mul_f64 v[74:75], v[18:19], v[28:29]
	v_fma_f64 v[72:73], v[18:19], v[26:27], -v[2:3]
	v_fmac_f64_e32 v[74:75], v[20:21], v[26:27]
	ds_read_b128 v[2:5], v1 offset:8192
	ds_read_b128 v[18:21], v1 offset:16384
	v_fma_f64 v[26:27], v[42:43], 2.0, -v[22:23]
	v_fma_f64 v[28:29], v[44:45], 2.0, -v[24:25]
	v_add_f64 v[42:43], v[54:55], -v[64:65]
	v_add_f64 v[44:45], v[56:57], -v[66:67]
	v_fma_f64 v[36:37], v[48:49], 2.0, -v[32:33]
	s_waitcnt lgkmcnt(1)
	v_add_f64 v[38:39], v[2:3], -v[52:53]
	v_add_f64 v[40:41], v[4:5], -v[62:63]
	v_fma_f64 v[46:47], v[54:55], 2.0, -v[42:43]
	v_fma_f64 v[48:49], v[56:57], 2.0, -v[44:45]
	s_waitcnt lgkmcnt(0)
	v_add_f64 v[50:51], v[18:19], -v[68:69]
	v_add_f64 v[52:53], v[20:21], -v[70:71]
	;; [unrolled: 1-line block ×4, first 2 shown]
	v_fma_f64 v[2:3], v[2:3], 2.0, -v[38:39]
	v_fma_f64 v[4:5], v[4:5], 2.0, -v[40:41]
	;; [unrolled: 1-line block ×6, first 2 shown]
	s_barrier
	ds_write_b128 v1, v[26:29]
	ds_write_b128 v1, v[22:25] offset:24576
	ds_write_b128 v1, v[34:37] offset:4096
	ds_write_b128 v1, v[30:33] offset:28672
	ds_write_b128 v1, v[2:5] offset:8192
	ds_write_b128 v1, v[38:41] offset:32768
	ds_write_b128 v6, v[46:49]
	ds_write_b128 v6, v[42:45] offset:24576
	ds_write_b128 v1, v[18:21] offset:16384
	;; [unrolled: 1-line block ×5, first 2 shown]
	s_waitcnt lgkmcnt(0)
	s_barrier
	s_and_saveexec_b64 s[0:1], vcc
	s_cbranch_execz .LBB0_21
; %bb.20:
	v_mul_lo_u32 v0, s3, v12
	v_mul_lo_u32 v1, s2, v13
	v_mad_u64_u32 v[4:5], s[0:1], s2, v12, 0
	v_add3_u32 v5, v5, v1, v0
	v_lshl_add_u32 v12, v14, 4, 0
	ds_read_b128 v[0:3], v12
	v_lshl_add_u64 v[4:5], v[4:5], 4, s[6:7]
	v_lshl_add_u64 v[8:9], v[10:11], 4, v[4:5]
	ds_read_b128 v[4:7], v12 offset:4096
	v_mov_b32_e32 v15, v17
	v_lshl_add_u64 v[10:11], v[14:15], 4, v[8:9]
	v_add_u32_e32 v16, 0x100, v14
	s_waitcnt lgkmcnt(1)
	global_store_dwordx4 v[10:11], v[0:3], off
	v_lshl_add_u64 v[10:11], v[16:17], 4, v[8:9]
	ds_read_b128 v[0:3], v12 offset:8192
	s_waitcnt lgkmcnt(1)
	global_store_dwordx4 v[10:11], v[4:7], off
	ds_read_b128 v[4:7], v12 offset:12288
	v_add_u32_e32 v16, 0x200, v14
	v_lshl_add_u64 v[10:11], v[16:17], 4, v[8:9]
	v_add_u32_e32 v16, 0x300, v14
	s_waitcnt lgkmcnt(1)
	global_store_dwordx4 v[10:11], v[0:3], off
	v_lshl_add_u64 v[10:11], v[16:17], 4, v[8:9]
	ds_read_b128 v[0:3], v12 offset:16384
	s_waitcnt lgkmcnt(1)
	global_store_dwordx4 v[10:11], v[4:7], off
	ds_read_b128 v[4:7], v12 offset:20480
	v_add_u32_e32 v16, 0x400, v14
	v_lshl_add_u64 v[10:11], v[16:17], 4, v[8:9]
	v_add_u32_e32 v16, 0x500, v14
	s_waitcnt lgkmcnt(1)
	global_store_dwordx4 v[10:11], v[0:3], off
	v_lshl_add_u64 v[10:11], v[16:17], 4, v[8:9]
	ds_read_b128 v[0:3], v12 offset:24576
	s_waitcnt lgkmcnt(1)
	global_store_dwordx4 v[10:11], v[4:7], off
	ds_read_b128 v[4:7], v12 offset:28672
	v_add_u32_e32 v16, 0x600, v14
	v_lshl_add_u64 v[10:11], v[16:17], 4, v[8:9]
	v_add_u32_e32 v16, 0x700, v14
	s_waitcnt lgkmcnt(1)
	global_store_dwordx4 v[10:11], v[0:3], off
	v_lshl_add_u64 v[10:11], v[16:17], 4, v[8:9]
	ds_read_b128 v[0:3], v12 offset:32768
	s_waitcnt lgkmcnt(1)
	global_store_dwordx4 v[10:11], v[4:7], off
	ds_read_b128 v[4:7], v12 offset:36864
	v_add_u32_e32 v16, 0x800, v14
	v_lshl_add_u64 v[10:11], v[16:17], 4, v[8:9]
	v_add_u32_e32 v16, 0x900, v14
	s_waitcnt lgkmcnt(1)
	global_store_dwordx4 v[10:11], v[0:3], off
	v_lshl_add_u64 v[10:11], v[16:17], 4, v[8:9]
	ds_read_b128 v[0:3], v12 offset:40960
	s_waitcnt lgkmcnt(1)
	global_store_dwordx4 v[10:11], v[4:7], off
	ds_read_b128 v[4:7], v12 offset:45056
	v_add_u32_e32 v16, 0xa00, v14
	v_lshl_add_u64 v[10:11], v[16:17], 4, v[8:9]
	v_add_u32_e32 v16, 0xb00, v14
	s_waitcnt lgkmcnt(1)
	global_store_dwordx4 v[10:11], v[0:3], off
	s_nop 1
	v_lshl_add_u64 v[0:1], v[16:17], 4, v[8:9]
	s_waitcnt lgkmcnt(0)
	global_store_dwordx4 v[0:1], v[4:7], off
.LBB0_21:
	s_endpgm
	.section	.rodata,"a",@progbits
	.p2align	6, 0x0
	.amdhsa_kernel fft_rtc_fwd_len3072_factors_6_4_4_4_4_2_wgs_256_tpt_256_halfLds_dp_op_CI_CI_unitstride_sbrr_C2R_dirReg
		.amdhsa_group_segment_fixed_size 0
		.amdhsa_private_segment_fixed_size 0
		.amdhsa_kernarg_size 104
		.amdhsa_user_sgpr_count 2
		.amdhsa_user_sgpr_dispatch_ptr 0
		.amdhsa_user_sgpr_queue_ptr 0
		.amdhsa_user_sgpr_kernarg_segment_ptr 1
		.amdhsa_user_sgpr_dispatch_id 0
		.amdhsa_user_sgpr_kernarg_preload_length 0
		.amdhsa_user_sgpr_kernarg_preload_offset 0
		.amdhsa_user_sgpr_private_segment_size 0
		.amdhsa_uses_dynamic_stack 0
		.amdhsa_enable_private_segment 0
		.amdhsa_system_sgpr_workgroup_id_x 1
		.amdhsa_system_sgpr_workgroup_id_y 0
		.amdhsa_system_sgpr_workgroup_id_z 0
		.amdhsa_system_sgpr_workgroup_info 0
		.amdhsa_system_vgpr_workitem_id 0
		.amdhsa_next_free_vgpr 98
		.amdhsa_next_free_sgpr 28
		.amdhsa_accum_offset 100
		.amdhsa_reserve_vcc 1
		.amdhsa_float_round_mode_32 0
		.amdhsa_float_round_mode_16_64 0
		.amdhsa_float_denorm_mode_32 3
		.amdhsa_float_denorm_mode_16_64 3
		.amdhsa_dx10_clamp 1
		.amdhsa_ieee_mode 1
		.amdhsa_fp16_overflow 0
		.amdhsa_tg_split 0
		.amdhsa_exception_fp_ieee_invalid_op 0
		.amdhsa_exception_fp_denorm_src 0
		.amdhsa_exception_fp_ieee_div_zero 0
		.amdhsa_exception_fp_ieee_overflow 0
		.amdhsa_exception_fp_ieee_underflow 0
		.amdhsa_exception_fp_ieee_inexact 0
		.amdhsa_exception_int_div_zero 0
	.end_amdhsa_kernel
	.text
.Lfunc_end0:
	.size	fft_rtc_fwd_len3072_factors_6_4_4_4_4_2_wgs_256_tpt_256_halfLds_dp_op_CI_CI_unitstride_sbrr_C2R_dirReg, .Lfunc_end0-fft_rtc_fwd_len3072_factors_6_4_4_4_4_2_wgs_256_tpt_256_halfLds_dp_op_CI_CI_unitstride_sbrr_C2R_dirReg
                                        ; -- End function
	.section	.AMDGPU.csdata,"",@progbits
; Kernel info:
; codeLenInByte = 9720
; NumSgprs: 34
; NumVgprs: 98
; NumAgprs: 0
; TotalNumVgprs: 98
; ScratchSize: 0
; MemoryBound: 0
; FloatMode: 240
; IeeeMode: 1
; LDSByteSize: 0 bytes/workgroup (compile time only)
; SGPRBlocks: 4
; VGPRBlocks: 12
; NumSGPRsForWavesPerEU: 34
; NumVGPRsForWavesPerEU: 98
; AccumOffset: 100
; Occupancy: 4
; WaveLimiterHint : 1
; COMPUTE_PGM_RSRC2:SCRATCH_EN: 0
; COMPUTE_PGM_RSRC2:USER_SGPR: 2
; COMPUTE_PGM_RSRC2:TRAP_HANDLER: 0
; COMPUTE_PGM_RSRC2:TGID_X_EN: 1
; COMPUTE_PGM_RSRC2:TGID_Y_EN: 0
; COMPUTE_PGM_RSRC2:TGID_Z_EN: 0
; COMPUTE_PGM_RSRC2:TIDIG_COMP_CNT: 0
; COMPUTE_PGM_RSRC3_GFX90A:ACCUM_OFFSET: 24
; COMPUTE_PGM_RSRC3_GFX90A:TG_SPLIT: 0
	.text
	.p2alignl 6, 3212836864
	.fill 256, 4, 3212836864
	.type	__hip_cuid_62ce4f25781535c3,@object ; @__hip_cuid_62ce4f25781535c3
	.section	.bss,"aw",@nobits
	.globl	__hip_cuid_62ce4f25781535c3
__hip_cuid_62ce4f25781535c3:
	.byte	0                               ; 0x0
	.size	__hip_cuid_62ce4f25781535c3, 1

	.ident	"AMD clang version 19.0.0git (https://github.com/RadeonOpenCompute/llvm-project roc-6.4.0 25133 c7fe45cf4b819c5991fe208aaa96edf142730f1d)"
	.section	".note.GNU-stack","",@progbits
	.addrsig
	.addrsig_sym __hip_cuid_62ce4f25781535c3
	.amdgpu_metadata
---
amdhsa.kernels:
  - .agpr_count:     0
    .args:
      - .actual_access:  read_only
        .address_space:  global
        .offset:         0
        .size:           8
        .value_kind:     global_buffer
      - .offset:         8
        .size:           8
        .value_kind:     by_value
      - .actual_access:  read_only
        .address_space:  global
        .offset:         16
        .size:           8
        .value_kind:     global_buffer
      - .actual_access:  read_only
        .address_space:  global
        .offset:         24
        .size:           8
        .value_kind:     global_buffer
      - .actual_access:  read_only
        .address_space:  global
        .offset:         32
        .size:           8
        .value_kind:     global_buffer
      - .offset:         40
        .size:           8
        .value_kind:     by_value
      - .actual_access:  read_only
        .address_space:  global
        .offset:         48
        .size:           8
        .value_kind:     global_buffer
      - .actual_access:  read_only
        .address_space:  global
        .offset:         56
        .size:           8
        .value_kind:     global_buffer
      - .offset:         64
        .size:           4
        .value_kind:     by_value
      - .actual_access:  read_only
        .address_space:  global
        .offset:         72
        .size:           8
        .value_kind:     global_buffer
      - .actual_access:  read_only
        .address_space:  global
        .offset:         80
        .size:           8
        .value_kind:     global_buffer
      - .actual_access:  read_only
        .address_space:  global
        .offset:         88
        .size:           8
        .value_kind:     global_buffer
      - .actual_access:  write_only
        .address_space:  global
        .offset:         96
        .size:           8
        .value_kind:     global_buffer
    .group_segment_fixed_size: 0
    .kernarg_segment_align: 8
    .kernarg_segment_size: 104
    .language:       OpenCL C
    .language_version:
      - 2
      - 0
    .max_flat_workgroup_size: 256
    .name:           fft_rtc_fwd_len3072_factors_6_4_4_4_4_2_wgs_256_tpt_256_halfLds_dp_op_CI_CI_unitstride_sbrr_C2R_dirReg
    .private_segment_fixed_size: 0
    .sgpr_count:     34
    .sgpr_spill_count: 0
    .symbol:         fft_rtc_fwd_len3072_factors_6_4_4_4_4_2_wgs_256_tpt_256_halfLds_dp_op_CI_CI_unitstride_sbrr_C2R_dirReg.kd
    .uniform_work_group_size: 1
    .uses_dynamic_stack: false
    .vgpr_count:     98
    .vgpr_spill_count: 0
    .wavefront_size: 64
amdhsa.target:   amdgcn-amd-amdhsa--gfx950
amdhsa.version:
  - 1
  - 2
...

	.end_amdgpu_metadata
